;; amdgpu-corpus repo=ROCm/rocFFT kind=compiled arch=gfx1201 opt=O3
	.text
	.amdgcn_target "amdgcn-amd-amdhsa--gfx1201"
	.amdhsa_code_object_version 6
	.protected	fft_rtc_fwd_len1470_factors_2_3_5_7_7_wgs_210_tpt_210_halfLds_dp_op_CI_CI_unitstride_sbrr_C2R_dirReg ; -- Begin function fft_rtc_fwd_len1470_factors_2_3_5_7_7_wgs_210_tpt_210_halfLds_dp_op_CI_CI_unitstride_sbrr_C2R_dirReg
	.globl	fft_rtc_fwd_len1470_factors_2_3_5_7_7_wgs_210_tpt_210_halfLds_dp_op_CI_CI_unitstride_sbrr_C2R_dirReg
	.p2align	8
	.type	fft_rtc_fwd_len1470_factors_2_3_5_7_7_wgs_210_tpt_210_halfLds_dp_op_CI_CI_unitstride_sbrr_C2R_dirReg,@function
fft_rtc_fwd_len1470_factors_2_3_5_7_7_wgs_210_tpt_210_halfLds_dp_op_CI_CI_unitstride_sbrr_C2R_dirReg: ; @fft_rtc_fwd_len1470_factors_2_3_5_7_7_wgs_210_tpt_210_halfLds_dp_op_CI_CI_unitstride_sbrr_C2R_dirReg
; %bb.0:
	s_clause 0x2
	s_load_b128 s[8:11], s[0:1], 0x0
	s_load_b128 s[4:7], s[0:1], 0x58
	;; [unrolled: 1-line block ×3, first 2 shown]
	v_mul_u32_u24_e32 v1, 0x139, v0
	v_mov_b32_e32 v3, 0
	s_delay_alu instid0(VALU_DEP_2) | instskip(NEXT) | instid1(VALU_DEP_1)
	v_lshrrev_b32_e32 v1, 16, v1
	v_add_nc_u32_e32 v5, ttmp9, v1
	v_mov_b32_e32 v1, 0
	v_mov_b32_e32 v2, 0
	;; [unrolled: 1-line block ×3, first 2 shown]
	s_wait_kmcnt 0x0
	v_cmp_lt_u64_e64 s2, s[10:11], 2
	s_delay_alu instid0(VALU_DEP_1)
	s_and_b32 vcc_lo, exec_lo, s2
	s_cbranch_vccnz .LBB0_8
; %bb.1:
	s_load_b64 s[2:3], s[0:1], 0x10
	v_mov_b32_e32 v1, 0
	v_mov_b32_e32 v2, 0
	s_add_nc_u64 s[16:17], s[14:15], 8
	s_add_nc_u64 s[18:19], s[12:13], 8
	s_mov_b64 s[20:21], 1
	s_delay_alu instid0(VALU_DEP_1)
	v_dual_mov_b32 v41, v2 :: v_dual_mov_b32 v40, v1
	s_wait_kmcnt 0x0
	s_add_nc_u64 s[22:23], s[2:3], 8
	s_mov_b32 s3, 0
.LBB0_2:                                ; =>This Inner Loop Header: Depth=1
	s_load_b64 s[24:25], s[22:23], 0x0
                                        ; implicit-def: $vgpr42_vgpr43
	s_mov_b32 s2, exec_lo
	s_wait_kmcnt 0x0
	v_or_b32_e32 v4, s25, v6
	s_delay_alu instid0(VALU_DEP_1)
	v_cmpx_ne_u64_e32 0, v[3:4]
	s_wait_alu 0xfffe
	s_xor_b32 s26, exec_lo, s2
	s_cbranch_execz .LBB0_4
; %bb.3:                                ;   in Loop: Header=BB0_2 Depth=1
	s_cvt_f32_u32 s2, s24
	s_cvt_f32_u32 s27, s25
	s_sub_nc_u64 s[30:31], 0, s[24:25]
	s_wait_alu 0xfffe
	s_delay_alu instid0(SALU_CYCLE_1) | instskip(SKIP_1) | instid1(SALU_CYCLE_2)
	s_fmamk_f32 s2, s27, 0x4f800000, s2
	s_wait_alu 0xfffe
	v_s_rcp_f32 s2, s2
	s_delay_alu instid0(TRANS32_DEP_1) | instskip(SKIP_1) | instid1(SALU_CYCLE_2)
	s_mul_f32 s2, s2, 0x5f7ffffc
	s_wait_alu 0xfffe
	s_mul_f32 s27, s2, 0x2f800000
	s_wait_alu 0xfffe
	s_delay_alu instid0(SALU_CYCLE_2) | instskip(SKIP_1) | instid1(SALU_CYCLE_2)
	s_trunc_f32 s27, s27
	s_wait_alu 0xfffe
	s_fmamk_f32 s2, s27, 0xcf800000, s2
	s_cvt_u32_f32 s29, s27
	s_wait_alu 0xfffe
	s_delay_alu instid0(SALU_CYCLE_1) | instskip(SKIP_1) | instid1(SALU_CYCLE_2)
	s_cvt_u32_f32 s28, s2
	s_wait_alu 0xfffe
	s_mul_u64 s[34:35], s[30:31], s[28:29]
	s_wait_alu 0xfffe
	s_mul_hi_u32 s37, s28, s35
	s_mul_i32 s36, s28, s35
	s_mul_hi_u32 s2, s28, s34
	s_mul_i32 s33, s29, s34
	s_wait_alu 0xfffe
	s_add_nc_u64 s[36:37], s[2:3], s[36:37]
	s_mul_hi_u32 s27, s29, s34
	s_mul_hi_u32 s38, s29, s35
	s_add_co_u32 s2, s36, s33
	s_wait_alu 0xfffe
	s_add_co_ci_u32 s2, s37, s27
	s_mul_i32 s34, s29, s35
	s_add_co_ci_u32 s35, s38, 0
	s_wait_alu 0xfffe
	s_add_nc_u64 s[34:35], s[2:3], s[34:35]
	s_wait_alu 0xfffe
	v_add_co_u32 v4, s2, s28, s34
	s_delay_alu instid0(VALU_DEP_1) | instskip(SKIP_1) | instid1(VALU_DEP_1)
	s_cmp_lg_u32 s2, 0
	s_add_co_ci_u32 s29, s29, s35
	v_readfirstlane_b32 s28, v4
	s_wait_alu 0xfffe
	s_delay_alu instid0(VALU_DEP_1)
	s_mul_u64 s[30:31], s[30:31], s[28:29]
	s_wait_alu 0xfffe
	s_mul_hi_u32 s35, s28, s31
	s_mul_i32 s34, s28, s31
	s_mul_hi_u32 s2, s28, s30
	s_mul_i32 s33, s29, s30
	s_wait_alu 0xfffe
	s_add_nc_u64 s[34:35], s[2:3], s[34:35]
	s_mul_hi_u32 s27, s29, s30
	s_mul_hi_u32 s28, s29, s31
	s_wait_alu 0xfffe
	s_add_co_u32 s2, s34, s33
	s_add_co_ci_u32 s2, s35, s27
	s_mul_i32 s30, s29, s31
	s_add_co_ci_u32 s31, s28, 0
	s_wait_alu 0xfffe
	s_add_nc_u64 s[30:31], s[2:3], s[30:31]
	s_wait_alu 0xfffe
	v_add_co_u32 v4, s2, v4, s30
	s_delay_alu instid0(VALU_DEP_1) | instskip(SKIP_1) | instid1(VALU_DEP_1)
	s_cmp_lg_u32 s2, 0
	s_add_co_ci_u32 s2, s29, s31
	v_mul_hi_u32 v13, v5, v4
	s_wait_alu 0xfffe
	v_mad_co_u64_u32 v[7:8], null, v5, s2, 0
	v_mad_co_u64_u32 v[9:10], null, v6, v4, 0
	;; [unrolled: 1-line block ×3, first 2 shown]
	s_delay_alu instid0(VALU_DEP_3) | instskip(SKIP_1) | instid1(VALU_DEP_4)
	v_add_co_u32 v4, vcc_lo, v13, v7
	s_wait_alu 0xfffd
	v_add_co_ci_u32_e32 v7, vcc_lo, 0, v8, vcc_lo
	s_delay_alu instid0(VALU_DEP_2) | instskip(SKIP_1) | instid1(VALU_DEP_2)
	v_add_co_u32 v4, vcc_lo, v4, v9
	s_wait_alu 0xfffd
	v_add_co_ci_u32_e32 v4, vcc_lo, v7, v10, vcc_lo
	s_wait_alu 0xfffd
	v_add_co_ci_u32_e32 v7, vcc_lo, 0, v12, vcc_lo
	s_delay_alu instid0(VALU_DEP_2) | instskip(SKIP_1) | instid1(VALU_DEP_2)
	v_add_co_u32 v4, vcc_lo, v4, v11
	s_wait_alu 0xfffd
	v_add_co_ci_u32_e32 v9, vcc_lo, 0, v7, vcc_lo
	s_delay_alu instid0(VALU_DEP_2) | instskip(SKIP_1) | instid1(VALU_DEP_3)
	v_mul_lo_u32 v10, s25, v4
	v_mad_co_u64_u32 v[7:8], null, s24, v4, 0
	v_mul_lo_u32 v11, s24, v9
	s_delay_alu instid0(VALU_DEP_2) | instskip(NEXT) | instid1(VALU_DEP_2)
	v_sub_co_u32 v7, vcc_lo, v5, v7
	v_add3_u32 v8, v8, v11, v10
	s_delay_alu instid0(VALU_DEP_1) | instskip(SKIP_1) | instid1(VALU_DEP_1)
	v_sub_nc_u32_e32 v10, v6, v8
	s_wait_alu 0xfffd
	v_subrev_co_ci_u32_e64 v10, s2, s25, v10, vcc_lo
	v_add_co_u32 v11, s2, v4, 2
	s_wait_alu 0xf1ff
	v_add_co_ci_u32_e64 v12, s2, 0, v9, s2
	v_sub_co_u32 v13, s2, v7, s24
	v_sub_co_ci_u32_e32 v8, vcc_lo, v6, v8, vcc_lo
	s_wait_alu 0xf1ff
	v_subrev_co_ci_u32_e64 v10, s2, 0, v10, s2
	s_delay_alu instid0(VALU_DEP_3) | instskip(NEXT) | instid1(VALU_DEP_3)
	v_cmp_le_u32_e32 vcc_lo, s24, v13
	v_cmp_eq_u32_e64 s2, s25, v8
	s_wait_alu 0xfffd
	v_cndmask_b32_e64 v13, 0, -1, vcc_lo
	v_cmp_le_u32_e32 vcc_lo, s25, v10
	s_wait_alu 0xfffd
	v_cndmask_b32_e64 v14, 0, -1, vcc_lo
	v_cmp_le_u32_e32 vcc_lo, s24, v7
	;; [unrolled: 3-line block ×3, first 2 shown]
	s_wait_alu 0xfffd
	v_cndmask_b32_e64 v15, 0, -1, vcc_lo
	v_cmp_eq_u32_e32 vcc_lo, s25, v10
	s_wait_alu 0xf1ff
	s_delay_alu instid0(VALU_DEP_2)
	v_cndmask_b32_e64 v7, v15, v7, s2
	s_wait_alu 0xfffd
	v_cndmask_b32_e32 v10, v14, v13, vcc_lo
	v_add_co_u32 v13, vcc_lo, v4, 1
	s_wait_alu 0xfffd
	v_add_co_ci_u32_e32 v14, vcc_lo, 0, v9, vcc_lo
	s_delay_alu instid0(VALU_DEP_3) | instskip(SKIP_1) | instid1(VALU_DEP_2)
	v_cmp_ne_u32_e32 vcc_lo, 0, v10
	s_wait_alu 0xfffd
	v_cndmask_b32_e32 v8, v14, v12, vcc_lo
	v_cndmask_b32_e32 v10, v13, v11, vcc_lo
	v_cmp_ne_u32_e32 vcc_lo, 0, v7
	s_wait_alu 0xfffd
	s_delay_alu instid0(VALU_DEP_2)
	v_dual_cndmask_b32 v43, v9, v8 :: v_dual_cndmask_b32 v42, v4, v10
.LBB0_4:                                ;   in Loop: Header=BB0_2 Depth=1
	s_wait_alu 0xfffe
	s_and_not1_saveexec_b32 s2, s26
	s_cbranch_execz .LBB0_6
; %bb.5:                                ;   in Loop: Header=BB0_2 Depth=1
	v_cvt_f32_u32_e32 v4, s24
	s_sub_co_i32 s26, 0, s24
	v_mov_b32_e32 v43, v3
	s_delay_alu instid0(VALU_DEP_2) | instskip(NEXT) | instid1(TRANS32_DEP_1)
	v_rcp_iflag_f32_e32 v4, v4
	v_mul_f32_e32 v4, 0x4f7ffffe, v4
	s_delay_alu instid0(VALU_DEP_1) | instskip(SKIP_1) | instid1(VALU_DEP_1)
	v_cvt_u32_f32_e32 v4, v4
	s_wait_alu 0xfffe
	v_mul_lo_u32 v7, s26, v4
	s_delay_alu instid0(VALU_DEP_1) | instskip(NEXT) | instid1(VALU_DEP_1)
	v_mul_hi_u32 v7, v4, v7
	v_add_nc_u32_e32 v4, v4, v7
	s_delay_alu instid0(VALU_DEP_1) | instskip(NEXT) | instid1(VALU_DEP_1)
	v_mul_hi_u32 v4, v5, v4
	v_mul_lo_u32 v7, v4, s24
	v_add_nc_u32_e32 v8, 1, v4
	s_delay_alu instid0(VALU_DEP_2) | instskip(NEXT) | instid1(VALU_DEP_1)
	v_sub_nc_u32_e32 v7, v5, v7
	v_subrev_nc_u32_e32 v9, s24, v7
	v_cmp_le_u32_e32 vcc_lo, s24, v7
	s_wait_alu 0xfffd
	s_delay_alu instid0(VALU_DEP_2) | instskip(NEXT) | instid1(VALU_DEP_1)
	v_dual_cndmask_b32 v7, v7, v9 :: v_dual_cndmask_b32 v4, v4, v8
	v_cmp_le_u32_e32 vcc_lo, s24, v7
	s_delay_alu instid0(VALU_DEP_2) | instskip(SKIP_1) | instid1(VALU_DEP_1)
	v_add_nc_u32_e32 v8, 1, v4
	s_wait_alu 0xfffd
	v_cndmask_b32_e32 v42, v4, v8, vcc_lo
.LBB0_6:                                ;   in Loop: Header=BB0_2 Depth=1
	s_wait_alu 0xfffe
	s_or_b32 exec_lo, exec_lo, s2
	v_mul_lo_u32 v4, v43, s24
	s_delay_alu instid0(VALU_DEP_2)
	v_mul_lo_u32 v9, v42, s25
	s_load_b64 s[26:27], s[18:19], 0x0
	v_mad_co_u64_u32 v[7:8], null, v42, s24, 0
	s_load_b64 s[24:25], s[16:17], 0x0
	s_add_nc_u64 s[20:21], s[20:21], 1
	s_add_nc_u64 s[16:17], s[16:17], 8
	s_wait_alu 0xfffe
	v_cmp_ge_u64_e64 s2, s[20:21], s[10:11]
	s_add_nc_u64 s[18:19], s[18:19], 8
	s_add_nc_u64 s[22:23], s[22:23], 8
	v_add3_u32 v4, v8, v9, v4
	v_sub_co_u32 v5, vcc_lo, v5, v7
	s_wait_alu 0xfffd
	s_delay_alu instid0(VALU_DEP_2) | instskip(SKIP_2) | instid1(VALU_DEP_1)
	v_sub_co_ci_u32_e32 v4, vcc_lo, v6, v4, vcc_lo
	s_and_b32 vcc_lo, exec_lo, s2
	s_wait_kmcnt 0x0
	v_mul_lo_u32 v6, s26, v4
	v_mul_lo_u32 v7, s27, v5
	v_mad_co_u64_u32 v[1:2], null, s26, v5, v[1:2]
	v_mul_lo_u32 v4, s24, v4
	v_mul_lo_u32 v8, s25, v5
	v_mad_co_u64_u32 v[40:41], null, s24, v5, v[40:41]
	s_delay_alu instid0(VALU_DEP_4) | instskip(NEXT) | instid1(VALU_DEP_2)
	v_add3_u32 v2, v7, v2, v6
	v_add3_u32 v41, v8, v41, v4
	s_wait_alu 0xfffe
	s_cbranch_vccnz .LBB0_9
; %bb.7:                                ;   in Loop: Header=BB0_2 Depth=1
	v_dual_mov_b32 v5, v42 :: v_dual_mov_b32 v6, v43
	s_branch .LBB0_2
.LBB0_8:
	v_dual_mov_b32 v41, v2 :: v_dual_mov_b32 v40, v1
	v_dual_mov_b32 v43, v6 :: v_dual_mov_b32 v42, v5
.LBB0_9:
	s_load_b64 s[0:1], s[0:1], 0x28
	v_mul_hi_u32 v3, 0x1381382, v0
	s_lshl_b64 s[10:11], s[10:11], 3
                                        ; implicit-def: $vgpr44
	s_wait_alu 0xfffe
	s_add_nc_u64 s[2:3], s[14:15], s[10:11]
	s_wait_kmcnt 0x0
	v_cmp_gt_u64_e32 vcc_lo, s[0:1], v[42:43]
	v_cmp_le_u64_e64 s0, s[0:1], v[42:43]
	s_delay_alu instid0(VALU_DEP_1)
	s_and_saveexec_b32 s1, s0
	s_wait_alu 0xfffe
	s_xor_b32 s0, exec_lo, s1
; %bb.10:
	v_mul_u32_u24_e32 v1, 0xd2, v3
                                        ; implicit-def: $vgpr3
	s_delay_alu instid0(VALU_DEP_1)
	v_sub_nc_u32_e32 v44, v0, v1
                                        ; implicit-def: $vgpr0
                                        ; implicit-def: $vgpr1_vgpr2
; %bb.11:
	s_wait_alu 0xfffe
	s_or_saveexec_b32 s1, s0
	s_load_b64 s[2:3], s[2:3], 0x0
	s_xor_b32 exec_lo, exec_lo, s1
	s_cbranch_execz .LBB0_15
; %bb.12:
	s_add_nc_u64 s[10:11], s[12:13], s[10:11]
	v_lshlrev_b64_e32 v[1:2], 4, v[1:2]
	s_load_b64 s[10:11], s[10:11], 0x0
	s_wait_kmcnt 0x0
	v_mul_lo_u32 v6, s11, v42
	v_mul_lo_u32 v7, s10, v43
	v_mad_co_u64_u32 v[4:5], null, s10, v42, 0
	s_delay_alu instid0(VALU_DEP_1) | instskip(SKIP_1) | instid1(VALU_DEP_2)
	v_add3_u32 v5, v5, v7, v6
	v_mul_u32_u24_e32 v6, 0xd2, v3
	v_lshlrev_b64_e32 v[3:4], 4, v[4:5]
	s_delay_alu instid0(VALU_DEP_2) | instskip(NEXT) | instid1(VALU_DEP_1)
	v_sub_nc_u32_e32 v44, v0, v6
	v_lshlrev_b32_e32 v30, 4, v44
	s_delay_alu instid0(VALU_DEP_3) | instskip(SKIP_1) | instid1(VALU_DEP_4)
	v_add_co_u32 v0, s0, s4, v3
	s_wait_alu 0xf1ff
	v_add_co_ci_u32_e64 v3, s0, s5, v4, s0
	s_mov_b32 s4, exec_lo
	s_delay_alu instid0(VALU_DEP_2) | instskip(SKIP_1) | instid1(VALU_DEP_2)
	v_add_co_u32 v0, s0, v0, v1
	s_wait_alu 0xf1ff
	v_add_co_ci_u32_e64 v1, s0, v3, v2, s0
	s_delay_alu instid0(VALU_DEP_2) | instskip(SKIP_1) | instid1(VALU_DEP_2)
	v_add_co_u32 v26, s0, v0, v30
	s_wait_alu 0xf1ff
	v_add_co_ci_u32_e64 v27, s0, 0, v1, s0
	s_clause 0x6
	global_load_b128 v[2:5], v[26:27], off
	global_load_b128 v[6:9], v[26:27], off offset:3360
	global_load_b128 v[10:13], v[26:27], off offset:6720
	global_load_b128 v[14:17], v[26:27], off offset:10080
	global_load_b128 v[18:21], v[26:27], off offset:13440
	global_load_b128 v[22:25], v[26:27], off offset:16800
	global_load_b128 v[26:29], v[26:27], off offset:20160
	v_add_nc_u32_e32 v30, 0, v30
	s_wait_loadcnt 0x6
	ds_store_b128 v30, v[2:5]
	s_wait_loadcnt 0x5
	ds_store_b128 v30, v[6:9] offset:3360
	s_wait_loadcnt 0x4
	ds_store_b128 v30, v[10:13] offset:6720
	;; [unrolled: 2-line block ×6, first 2 shown]
	v_cmpx_eq_u32_e32 0xd1, v44
	s_cbranch_execz .LBB0_14
; %bb.13:
	global_load_b128 v[0:3], v[0:1], off offset:23520
	v_mov_b32_e32 v4, 0
	v_mov_b32_e32 v44, 0xd1
	s_wait_loadcnt 0x0
	ds_store_b128 v4, v[0:3] offset:23520
.LBB0_14:
	s_wait_alu 0xfffe
	s_or_b32 exec_lo, exec_lo, s4
.LBB0_15:
	s_delay_alu instid0(SALU_CYCLE_1)
	s_or_b32 exec_lo, exec_lo, s1
	v_lshlrev_b32_e32 v0, 4, v44
	global_wb scope:SCOPE_SE
	s_wait_dscnt 0x0
	s_wait_kmcnt 0x0
	s_barrier_signal -1
	s_barrier_wait -1
	global_inv scope:SCOPE_SE
	v_add_nc_u32_e32 v46, 0, v0
	v_sub_nc_u32_e32 v10, 0, v0
	s_mov_b32 s1, exec_lo
                                        ; implicit-def: $vgpr4_vgpr5
	ds_load_b64 v[6:7], v46
	ds_load_b64 v[8:9], v10 offset:23520
	s_wait_dscnt 0x0
	v_add_f64_e32 v[0:1], v[6:7], v[8:9]
	v_add_f64_e64 v[2:3], v[6:7], -v[8:9]
	v_cmpx_ne_u32_e32 0, v44
	s_wait_alu 0xfffe
	s_xor_b32 s1, exec_lo, s1
	s_cbranch_execz .LBB0_17
; %bb.16:
	v_mov_b32_e32 v45, 0
	v_add_f64_e32 v[13:14], v[6:7], v[8:9]
	v_add_f64_e64 v[15:16], v[6:7], -v[8:9]
	s_delay_alu instid0(VALU_DEP_3) | instskip(NEXT) | instid1(VALU_DEP_1)
	v_lshlrev_b64_e32 v[0:1], 4, v[44:45]
	v_add_co_u32 v0, s0, s8, v0
	s_wait_alu 0xf1ff
	s_delay_alu instid0(VALU_DEP_2)
	v_add_co_ci_u32_e64 v1, s0, s9, v1, s0
	global_load_b128 v[2:5], v[0:1], off offset:23488
	ds_load_b64 v[0:1], v10 offset:23528
	ds_load_b64 v[11:12], v46 offset:8
	s_wait_dscnt 0x0
	v_add_f64_e32 v[6:7], v[0:1], v[11:12]
	v_add_f64_e64 v[0:1], v[11:12], -v[0:1]
	s_wait_loadcnt 0x0
	v_fma_f64 v[8:9], v[15:16], v[4:5], v[13:14]
	v_fma_f64 v[11:12], -v[15:16], v[4:5], v[13:14]
	s_delay_alu instid0(VALU_DEP_3) | instskip(SKIP_1) | instid1(VALU_DEP_4)
	v_fma_f64 v[13:14], v[6:7], v[4:5], -v[0:1]
	v_fma_f64 v[4:5], v[6:7], v[4:5], v[0:1]
	v_fma_f64 v[0:1], -v[6:7], v[2:3], v[8:9]
	s_delay_alu instid0(VALU_DEP_4) | instskip(NEXT) | instid1(VALU_DEP_4)
	v_fma_f64 v[6:7], v[6:7], v[2:3], v[11:12]
	v_fma_f64 v[8:9], v[15:16], v[2:3], v[13:14]
	s_delay_alu instid0(VALU_DEP_4)
	v_fma_f64 v[2:3], v[15:16], v[2:3], v[4:5]
	v_dual_mov_b32 v4, v44 :: v_dual_mov_b32 v5, v45
	ds_store_b128 v10, v[6:9] offset:23520
.LBB0_17:
	s_wait_alu 0xfffe
	s_and_not1_saveexec_b32 s0, s1
	s_cbranch_execz .LBB0_19
; %bb.18:
	v_mov_b32_e32 v8, 0
	ds_load_b128 v[4:7], v8 offset:11760
	s_wait_dscnt 0x0
	v_add_f64_e32 v[11:12], v[4:5], v[4:5]
	v_mul_f64_e32 v[13:14], -2.0, v[6:7]
	v_mov_b32_e32 v4, 0
	v_mov_b32_e32 v5, 0
	ds_store_b128 v8, v[11:14] offset:11760
.LBB0_19:
	s_wait_alu 0xfffe
	s_or_b32 exec_lo, exec_lo, s0
	v_lshlrev_b64_e32 v[4:5], 4, v[4:5]
	s_add_nc_u64 s[0:1], s[8:9], 0x5bc0
	s_wait_alu 0xfffe
	s_delay_alu instid0(VALU_DEP_1) | instskip(SKIP_1) | instid1(VALU_DEP_2)
	v_add_co_u32 v4, s0, s0, v4
	s_wait_alu 0xf1ff
	v_add_co_ci_u32_e64 v5, s0, s1, v5, s0
	v_cmp_gt_u32_e64 s0, 0x69, v44
	s_clause 0x1
	global_load_b128 v[6:9], v[4:5], off offset:3360
	global_load_b128 v[11:14], v[4:5], off offset:6720
	ds_store_b128 v46, v[0:3]
	ds_load_b128 v[0:3], v46 offset:3360
	ds_load_b128 v[15:18], v10 offset:20160
	s_wait_dscnt 0x0
	v_add_f64_e32 v[19:20], v[0:1], v[15:16]
	v_add_f64_e32 v[21:22], v[17:18], v[2:3]
	v_add_f64_e64 v[23:24], v[0:1], -v[15:16]
	v_add_f64_e64 v[0:1], v[2:3], -v[17:18]
	s_wait_loadcnt 0x1
	s_delay_alu instid0(VALU_DEP_2) | instskip(NEXT) | instid1(VALU_DEP_2)
	v_fma_f64 v[2:3], v[23:24], v[8:9], v[19:20]
	v_fma_f64 v[15:16], v[21:22], v[8:9], v[0:1]
	v_fma_f64 v[17:18], -v[23:24], v[8:9], v[19:20]
	v_fma_f64 v[8:9], v[21:22], v[8:9], -v[0:1]
	s_delay_alu instid0(VALU_DEP_4) | instskip(NEXT) | instid1(VALU_DEP_4)
	v_fma_f64 v[0:1], -v[21:22], v[6:7], v[2:3]
	v_fma_f64 v[2:3], v[23:24], v[6:7], v[15:16]
	s_delay_alu instid0(VALU_DEP_4) | instskip(NEXT) | instid1(VALU_DEP_4)
	v_fma_f64 v[15:16], v[21:22], v[6:7], v[17:18]
	v_fma_f64 v[17:18], v[23:24], v[6:7], v[8:9]
	ds_store_b128 v46, v[0:3] offset:3360
	ds_store_b128 v10, v[15:18] offset:20160
	ds_load_b128 v[0:3], v46 offset:6720
	ds_load_b128 v[6:9], v10 offset:16800
	s_wait_dscnt 0x0
	v_add_f64_e32 v[15:16], v[0:1], v[6:7]
	v_add_f64_e32 v[17:18], v[8:9], v[2:3]
	v_add_f64_e64 v[19:20], v[0:1], -v[6:7]
	v_add_f64_e64 v[0:1], v[2:3], -v[8:9]
	s_wait_loadcnt 0x0
	s_delay_alu instid0(VALU_DEP_2) | instskip(NEXT) | instid1(VALU_DEP_2)
	v_fma_f64 v[2:3], v[19:20], v[13:14], v[15:16]
	v_fma_f64 v[6:7], v[17:18], v[13:14], v[0:1]
	v_fma_f64 v[8:9], -v[19:20], v[13:14], v[15:16]
	v_fma_f64 v[13:14], v[17:18], v[13:14], -v[0:1]
	s_delay_alu instid0(VALU_DEP_4) | instskip(NEXT) | instid1(VALU_DEP_4)
	v_fma_f64 v[0:1], -v[17:18], v[11:12], v[2:3]
	v_fma_f64 v[2:3], v[19:20], v[11:12], v[6:7]
	s_delay_alu instid0(VALU_DEP_4) | instskip(NEXT) | instid1(VALU_DEP_4)
	v_fma_f64 v[6:7], v[17:18], v[11:12], v[8:9]
	v_fma_f64 v[8:9], v[19:20], v[11:12], v[13:14]
	ds_store_b128 v46, v[0:3] offset:6720
	ds_store_b128 v10, v[6:9] offset:16800
	s_and_saveexec_b32 s1, s0
	s_cbranch_execz .LBB0_21
; %bb.20:
	global_load_b128 v[0:3], v[4:5], off offset:10080
	ds_load_b128 v[4:7], v46 offset:10080
	ds_load_b128 v[11:14], v10 offset:13440
	s_wait_dscnt 0x0
	v_add_f64_e32 v[8:9], v[4:5], v[11:12]
	v_add_f64_e32 v[15:16], v[13:14], v[6:7]
	v_add_f64_e64 v[11:12], v[4:5], -v[11:12]
	v_add_f64_e64 v[4:5], v[6:7], -v[13:14]
	s_wait_loadcnt 0x0
	s_delay_alu instid0(VALU_DEP_2) | instskip(NEXT) | instid1(VALU_DEP_2)
	v_fma_f64 v[6:7], v[11:12], v[2:3], v[8:9]
	v_fma_f64 v[13:14], v[15:16], v[2:3], v[4:5]
	v_fma_f64 v[8:9], -v[11:12], v[2:3], v[8:9]
	v_fma_f64 v[17:18], v[15:16], v[2:3], -v[4:5]
	s_delay_alu instid0(VALU_DEP_4) | instskip(NEXT) | instid1(VALU_DEP_4)
	v_fma_f64 v[2:3], -v[15:16], v[0:1], v[6:7]
	v_fma_f64 v[4:5], v[11:12], v[0:1], v[13:14]
	s_delay_alu instid0(VALU_DEP_4) | instskip(NEXT) | instid1(VALU_DEP_4)
	v_fma_f64 v[6:7], v[15:16], v[0:1], v[8:9]
	v_fma_f64 v[8:9], v[11:12], v[0:1], v[17:18]
	ds_store_b128 v46, v[2:5] offset:10080
	ds_store_b128 v10, v[6:9] offset:13440
.LBB0_21:
	s_wait_alu 0xfffe
	s_or_b32 exec_lo, exec_lo, s1
	global_wb scope:SCOPE_SE
	s_wait_dscnt 0x0
	s_barrier_signal -1
	s_barrier_wait -1
	global_inv scope:SCOPE_SE
	global_wb scope:SCOPE_SE
	s_barrier_signal -1
	s_barrier_wait -1
	global_inv scope:SCOPE_SE
	ds_load_b128 v[0:3], v46 offset:11760
	ds_load_b128 v[4:7], v46
	ds_load_b128 v[8:11], v46 offset:3360
	ds_load_b128 v[12:15], v46 offset:15120
	ds_load_b128 v[16:19], v46 offset:18480
	ds_load_b128 v[20:23], v46 offset:6720
	ds_load_b128 v[24:27], v46 offset:10080
	ds_load_b128 v[28:31], v46 offset:21840
	v_add_nc_u32_e32 v45, 0xd2, v44
	v_add_nc_u32_e32 v36, 0x1a4, v44
	global_wb scope:SCOPE_SE
	s_wait_dscnt 0x0
	s_barrier_signal -1
	s_barrier_wait -1
	global_inv scope:SCOPE_SE
	v_add_f64_e64 v[32:33], v[4:5], -v[0:1]
	v_add_f64_e64 v[34:35], v[6:7], -v[2:3]
	;; [unrolled: 1-line block ×8, first 2 shown]
	v_fma_f64 v[4:5], v[4:5], 2.0, -v[32:33]
	v_fma_f64 v[6:7], v[6:7], 2.0, -v[34:35]
	;; [unrolled: 1-line block ×8, first 2 shown]
	v_lshl_add_u32 v24, v44, 4, v46
	v_lshl_add_u32 v25, v45, 5, 0
	;; [unrolled: 1-line block ×3, first 2 shown]
	ds_store_b128 v24, v[4:7]
	ds_store_b128 v24, v[32:35] offset:16
	ds_store_b128 v25, v[8:11]
	ds_store_b128 v25, v[47:50] offset:16
	;; [unrolled: 2-line block ×3, first 2 shown]
	s_and_saveexec_b32 s1, s0
	s_cbranch_execz .LBB0_23
; %bb.22:
	v_lshl_add_u32 v4, v44, 5, 0
	ds_store_b128 v4, v[0:3] offset:20160
	ds_store_b128 v4, v[12:15] offset:20176
.LBB0_23:
	s_wait_alu 0xfffe
	s_or_b32 exec_lo, exec_lo, s1
	global_wb scope:SCOPE_SE
	s_wait_dscnt 0x0
	s_barrier_signal -1
	s_barrier_wait -1
	global_inv scope:SCOPE_SE
	ds_load_b128 v[8:11], v46
	ds_load_b128 v[4:7], v46 offset:3360
	ds_load_b128 v[24:27], v46 offset:7840
	;; [unrolled: 1-line block ×5, first 2 shown]
	v_cmp_gt_u32_e64 s0, 0x46, v44
                                        ; implicit-def: $vgpr34_vgpr35
	s_delay_alu instid0(VALU_DEP_1)
	s_and_saveexec_b32 s1, s0
	s_cbranch_execz .LBB0_25
; %bb.24:
	ds_load_b128 v[0:3], v46 offset:6720
	ds_load_b128 v[12:15], v46 offset:14560
	;; [unrolled: 1-line block ×3, first 2 shown]
.LBB0_25:
	s_wait_alu 0xfffe
	s_or_b32 exec_lo, exec_lo, s1
	v_and_b32_e32 v37, 1, v44
	s_mov_b32 s4, 0xe8584caa
	s_mov_b32 s5, 0x3febb67a
	;; [unrolled: 1-line block ×3, first 2 shown]
	s_wait_alu 0xfffe
	s_mov_b32 s10, s4
	v_lshlrev_b32_e32 v38, 5, v37
	s_clause 0x1
	global_load_b128 v[47:50], v38, s[8:9]
	global_load_b128 v[51:54], v38, s[8:9] offset:16
	global_wb scope:SCOPE_SE
	s_wait_loadcnt_dscnt 0x0
	s_barrier_signal -1
	s_barrier_wait -1
	global_inv scope:SCOPE_SE
	v_mul_f64_e32 v[38:39], v[26:27], v[49:50]
	v_mul_f64_e32 v[55:56], v[30:31], v[53:54]
	;; [unrolled: 1-line block ×12, first 2 shown]
	v_fma_f64 v[24:25], v[24:25], v[47:48], -v[38:39]
	v_fma_f64 v[28:29], v[28:29], v[51:52], -v[55:56]
	v_fma_f64 v[26:27], v[26:27], v[47:48], v[57:58]
	v_fma_f64 v[30:31], v[30:31], v[51:52], v[59:60]
	v_fma_f64 v[16:17], v[16:17], v[47:48], -v[61:62]
	v_fma_f64 v[20:21], v[20:21], v[51:52], -v[63:64]
	v_fma_f64 v[18:19], v[18:19], v[47:48], v[65:66]
	v_fma_f64 v[22:23], v[22:23], v[51:52], v[67:68]
	;; [unrolled: 4-line block ×3, first 2 shown]
	v_add_f64_e32 v[57:58], v[8:9], v[24:25]
	v_add_f64_e32 v[38:39], v[24:25], v[28:29]
	;; [unrolled: 1-line block ×3, first 2 shown]
	v_add_f64_e64 v[59:60], v[26:27], -v[30:31]
	v_add_f64_e32 v[49:50], v[16:17], v[20:21]
	v_add_f64_e32 v[26:27], v[10:11], v[26:27]
	;; [unrolled: 1-line block ×7, first 2 shown]
	v_add_f64_e64 v[69:70], v[16:17], -v[20:21]
	v_add_f64_e64 v[14:15], v[14:15], -v[34:35]
	;; [unrolled: 1-line block ×3, first 2 shown]
	v_add_f64_e32 v[61:62], v[4:5], v[16:17]
	v_add_f64_e32 v[63:64], v[6:7], v[18:19]
	;; [unrolled: 1-line block ×3, first 2 shown]
	v_fma_f64 v[8:9], v[38:39], -0.5, v[8:9]
	v_add_f64_e64 v[38:39], v[24:25], -v[28:29]
	v_fma_f64 v[10:11], v[47:48], -0.5, v[10:11]
	v_add_f64_e64 v[47:48], v[18:19], -v[22:23]
	v_fma_f64 v[49:50], v[49:50], -0.5, v[4:5]
	v_add_f64_e32 v[18:19], v[26:27], v[30:31]
	v_fma_f64 v[51:52], v[51:52], -0.5, v[6:7]
	v_add_f64_e32 v[4:5], v[65:66], v[32:33]
	;; [unrolled: 2-line block ×4, first 2 shown]
	v_add_f64_e32 v[22:23], v[63:64], v[22:23]
	v_fma_f64 v[24:25], v[59:60], s[4:5], v[8:9]
	s_wait_alu 0xfffe
	v_fma_f64 v[28:29], v[59:60], s[10:11], v[8:9]
	v_fma_f64 v[26:27], v[38:39], s[10:11], v[10:11]
	;; [unrolled: 1-line block ×11, first 2 shown]
	v_lshrrev_b32_e32 v38, 1, v44
	v_lshrrev_b32_e32 v39, 1, v45
	s_delay_alu instid0(VALU_DEP_2) | instskip(NEXT) | instid1(VALU_DEP_2)
	v_mul_u32_u24_e32 v38, 6, v38
	v_mul_u32_u24_e32 v39, 6, v39
	s_delay_alu instid0(VALU_DEP_2) | instskip(NEXT) | instid1(VALU_DEP_2)
	v_or_b32_e32 v38, v38, v37
	v_or_b32_e32 v39, v39, v37
	s_delay_alu instid0(VALU_DEP_2) | instskip(NEXT) | instid1(VALU_DEP_2)
	v_lshl_add_u32 v38, v38, 4, 0
	v_lshl_add_u32 v39, v39, 4, 0
	ds_store_b128 v38, v[16:19]
	ds_store_b128 v38, v[24:27] offset:32
	ds_store_b128 v38, v[28:31] offset:64
	ds_store_b128 v39, v[20:23]
	ds_store_b128 v39, v[32:35] offset:32
	ds_store_b128 v39, v[0:3] offset:64
	s_and_saveexec_b32 s1, s0
	s_cbranch_execz .LBB0_27
; %bb.26:
	v_lshrrev_b32_e32 v16, 1, v36
	s_delay_alu instid0(VALU_DEP_1) | instskip(NEXT) | instid1(VALU_DEP_1)
	v_mul_u32_u24_e32 v16, 6, v16
	v_or_b32_e32 v16, v16, v37
	s_delay_alu instid0(VALU_DEP_1)
	v_lshl_add_u32 v16, v16, 4, 0
	ds_store_b128 v16, v[4:7]
	ds_store_b128 v16, v[8:11] offset:32
	ds_store_b128 v16, v[12:15] offset:64
.LBB0_27:
	s_wait_alu 0xfffe
	s_or_b32 exec_lo, exec_lo, s1
	global_wb scope:SCOPE_SE
	s_wait_dscnt 0x0
	s_barrier_signal -1
	s_barrier_wait -1
	global_inv scope:SCOPE_SE
	ds_load_b128 v[20:23], v46
	ds_load_b128 v[36:39], v46 offset:4704
	ds_load_b128 v[24:27], v46 offset:9408
	;; [unrolled: 1-line block ×4, first 2 shown]
	v_cmp_gt_u32_e64 s0, 0x54, v44
                                        ; implicit-def: $vgpr18_vgpr19
	s_delay_alu instid0(VALU_DEP_1)
	s_and_saveexec_b32 s1, s0
	s_cbranch_execz .LBB0_29
; %bb.28:
	ds_load_b128 v[0:3], v46 offset:3360
	ds_load_b128 v[4:7], v46 offset:8064
	;; [unrolled: 1-line block ×5, first 2 shown]
.LBB0_29:
	s_wait_alu 0xfffe
	s_or_b32 exec_lo, exec_lo, s1
	v_and_b32_e32 v47, 0xff, v44
	s_mov_b32 s4, 0x134454ff
	s_mov_b32 s5, 0x3fee6f0e
	;; [unrolled: 1-line block ×3, first 2 shown]
	s_wait_alu 0xfffe
	s_mov_b32 s10, s4
	v_mul_lo_u16 v48, 0xab, v47
	s_mov_b32 s14, 0x4755a5e
	s_mov_b32 s15, 0x3fe2cf23
	;; [unrolled: 1-line block ×4, first 2 shown]
	v_lshrrev_b16 v80, 10, v48
	s_mov_b32 s16, 0x372fe950
	s_mov_b32 s17, 0x3fd3c6ef
	s_delay_alu instid0(VALU_DEP_1) | instskip(NEXT) | instid1(VALU_DEP_1)
	v_mul_lo_u16 v48, v80, 6
	v_sub_nc_u16 v48, v44, v48
	s_delay_alu instid0(VALU_DEP_1) | instskip(NEXT) | instid1(VALU_DEP_1)
	v_and_b32_e32 v81, 0xff, v48
	v_lshlrev_b32_e32 v60, 6, v81
	s_clause 0x3
	global_load_b128 v[48:51], v60, s[8:9] offset:64
	global_load_b128 v[52:55], v60, s[8:9] offset:80
	;; [unrolled: 1-line block ×4, first 2 shown]
	global_wb scope:SCOPE_SE
	s_wait_loadcnt_dscnt 0x0
	s_barrier_signal -1
	s_barrier_wait -1
	global_inv scope:SCOPE_SE
	v_mul_f64_e32 v[64:65], v[38:39], v[50:51]
	v_mul_f64_e32 v[66:67], v[26:27], v[54:55]
	;; [unrolled: 1-line block ×8, first 2 shown]
	v_fma_f64 v[36:37], v[36:37], v[48:49], -v[64:65]
	v_fma_f64 v[24:25], v[24:25], v[52:53], -v[66:67]
	;; [unrolled: 1-line block ×4, first 2 shown]
	v_fma_f64 v[26:27], v[26:27], v[52:53], v[54:55]
	v_fma_f64 v[30:31], v[30:31], v[56:57], v[58:59]
	;; [unrolled: 1-line block ×4, first 2 shown]
	v_add_f64_e32 v[56:57], v[20:21], v[36:37]
	v_add_f64_e32 v[48:49], v[24:25], v[28:29]
	;; [unrolled: 1-line block ×3, first 2 shown]
	v_add_f64_e64 v[64:65], v[36:37], -v[32:33]
	v_add_f64_e32 v[52:53], v[26:27], v[30:31]
	v_add_f64_e32 v[62:63], v[22:23], v[38:39]
	v_add_f64_e32 v[54:55], v[38:39], v[34:35]
	v_add_f64_e64 v[58:59], v[38:39], -v[34:35]
	v_add_f64_e64 v[60:61], v[26:27], -v[30:31]
	;; [unrolled: 1-line block ×8, first 2 shown]
	v_fma_f64 v[48:49], v[48:49], -0.5, v[20:21]
	v_fma_f64 v[20:21], v[50:51], -0.5, v[20:21]
	v_add_f64_e64 v[50:51], v[24:25], -v[28:29]
	v_fma_f64 v[52:53], v[52:53], -0.5, v[22:23]
	v_add_f64_e32 v[26:27], v[62:63], v[26:27]
	v_fma_f64 v[22:23], v[54:55], -0.5, v[22:23]
	v_add_f64_e64 v[54:55], v[36:37], -v[24:25]
	v_add_f64_e64 v[36:37], v[24:25], -v[36:37]
	v_add_f64_e32 v[24:25], v[56:57], v[24:25]
	v_add_f64_e32 v[38:39], v[38:39], v[74:75]
	v_fma_f64 v[56:57], v[58:59], s[4:5], v[48:49]
	s_wait_alu 0xfffe
	v_fma_f64 v[48:49], v[58:59], s[10:11], v[48:49]
	v_fma_f64 v[62:63], v[60:61], s[10:11], v[20:21]
	;; [unrolled: 1-line block ×7, first 2 shown]
	v_add_f64_e32 v[24:25], v[24:25], v[28:29]
	v_add_f64_e32 v[26:27], v[26:27], v[30:31]
	;; [unrolled: 1-line block ×5, first 2 shown]
	v_fma_f64 v[28:29], v[60:61], s[14:15], v[56:57]
	v_fma_f64 v[30:31], v[60:61], s[12:13], v[48:49]
	;; [unrolled: 1-line block ×8, first 2 shown]
	v_add_f64_e32 v[20:21], v[24:25], v[32:33]
	v_add_f64_e32 v[22:23], v[26:27], v[34:35]
	v_fma_f64 v[24:25], v[54:55], s[16:17], v[28:29]
	v_fma_f64 v[28:29], v[54:55], s[16:17], v[30:31]
	;; [unrolled: 1-line block ×8, first 2 shown]
	v_and_b32_e32 v48, 0xffff, v80
	v_lshlrev_b32_e32 v49, 4, v81
	s_delay_alu instid0(VALU_DEP_2) | instskip(NEXT) | instid1(VALU_DEP_1)
	v_mul_u32_u24_e32 v48, 0x1e0, v48
	v_add3_u32 v48, 0, v48, v49
	ds_store_b128 v48, v[20:23]
	ds_store_b128 v48, v[24:27] offset:96
	ds_store_b128 v48, v[32:35] offset:192
	;; [unrolled: 1-line block ×4, first 2 shown]
	s_and_saveexec_b32 s1, s0
	s_cbranch_execz .LBB0_31
; %bb.30:
	v_and_b32_e32 v20, 0xffff, v45
	s_delay_alu instid0(VALU_DEP_1) | instskip(NEXT) | instid1(VALU_DEP_1)
	v_mul_u32_u24_e32 v20, 0xaaab, v20
	v_lshrrev_b32_e32 v60, 18, v20
	s_delay_alu instid0(VALU_DEP_1) | instskip(NEXT) | instid1(VALU_DEP_1)
	v_mul_lo_u16 v20, v60, 6
	v_sub_nc_u16 v20, v45, v20
	s_delay_alu instid0(VALU_DEP_1) | instskip(NEXT) | instid1(VALU_DEP_1)
	v_and_b32_e32 v45, 0xffff, v20
	v_lshlrev_b32_e32 v32, 6, v45
	s_clause 0x3
	global_load_b128 v[20:23], v32, s[8:9] offset:80
	global_load_b128 v[24:27], v32, s[8:9] offset:64
	;; [unrolled: 1-line block ×4, first 2 shown]
	s_wait_loadcnt 0x3
	v_mul_f64_e32 v[36:37], v[8:9], v[22:23]
	s_wait_loadcnt 0x2
	v_mul_f64_e32 v[38:39], v[4:5], v[26:27]
	;; [unrolled: 2-line block ×4, first 2 shown]
	v_mul_f64_e32 v[22:23], v[10:11], v[22:23]
	v_mul_f64_e32 v[34:35], v[14:15], v[34:35]
	;; [unrolled: 1-line block ×4, first 2 shown]
	v_fma_f64 v[10:11], v[10:11], v[20:21], v[36:37]
	v_fma_f64 v[6:7], v[6:7], v[24:25], v[38:39]
	;; [unrolled: 1-line block ×4, first 2 shown]
	v_fma_f64 v[8:9], v[8:9], v[20:21], -v[22:23]
	v_fma_f64 v[12:13], v[12:13], v[32:33], -v[34:35]
	;; [unrolled: 1-line block ×4, first 2 shown]
	v_add_f64_e32 v[32:33], v[2:3], v[6:7]
	v_add_f64_e32 v[20:21], v[6:7], v[18:19]
	;; [unrolled: 1-line block ×3, first 2 shown]
	v_add_f64_e64 v[36:37], v[10:11], -v[14:15]
	v_add_f64_e32 v[24:25], v[8:9], v[12:13]
	v_add_f64_e32 v[34:35], v[0:1], v[4:5]
	;; [unrolled: 1-line block ×3, first 2 shown]
	v_add_f64_e64 v[28:29], v[4:5], -v[16:17]
	v_add_f64_e64 v[30:31], v[8:9], -v[12:13]
	;; [unrolled: 1-line block ×8, first 2 shown]
	v_fma_f64 v[20:21], v[20:21], -0.5, v[2:3]
	v_fma_f64 v[2:3], v[22:23], -0.5, v[2:3]
	v_add_f64_e64 v[22:23], v[6:7], -v[18:19]
	v_fma_f64 v[24:25], v[24:25], -0.5, v[0:1]
	v_add_f64_e32 v[8:9], v[34:35], v[8:9]
	v_fma_f64 v[0:1], v[26:27], -0.5, v[0:1]
	v_add_f64_e64 v[26:27], v[10:11], -v[6:7]
	v_add_f64_e64 v[6:7], v[6:7], -v[10:11]
	v_add_f64_e32 v[10:11], v[32:33], v[10:11]
	v_fma_f64 v[32:33], v[30:31], s[10:11], v[20:21]
	v_fma_f64 v[20:21], v[30:31], s[4:5], v[20:21]
	;; [unrolled: 1-line block ×8, first 2 shown]
	v_add_f64_e32 v[26:27], v[26:27], v[38:39]
	v_add_f64_e32 v[38:39], v[6:7], v[48:49]
	;; [unrolled: 1-line block ×6, first 2 shown]
	v_fma_f64 v[8:9], v[28:29], s[14:15], v[32:33]
	v_fma_f64 v[10:11], v[28:29], s[12:13], v[20:21]
	;; [unrolled: 1-line block ×8, first 2 shown]
	v_add_f64_e32 v[2:3], v[4:5], v[18:19]
	v_add_f64_e32 v[0:1], v[6:7], v[16:17]
	v_fma_f64 v[6:7], v[26:27], s[16:17], v[8:9]
	v_fma_f64 v[10:11], v[26:27], s[16:17], v[10:11]
	;; [unrolled: 1-line block ×8, first 2 shown]
	v_mul_lo_u16 v20, v60, 30
	v_lshlrev_b32_e32 v21, 4, v45
	s_delay_alu instid0(VALU_DEP_2) | instskip(NEXT) | instid1(VALU_DEP_1)
	v_and_b32_e32 v20, 0xffff, v20
	v_lshlrev_b32_e32 v20, 4, v20
	s_delay_alu instid0(VALU_DEP_1)
	v_add3_u32 v20, 0, v21, v20
	ds_store_b128 v20, v[0:3]
	ds_store_b128 v20, v[16:19] offset:96
	ds_store_b128 v20, v[8:11] offset:192
	;; [unrolled: 1-line block ×4, first 2 shown]
.LBB0_31:
	s_wait_alu 0xfffe
	s_or_b32 exec_lo, exec_lo, s1
	v_mul_lo_u16 v0, 0x89, v47
	global_wb scope:SCOPE_SE
	s_wait_dscnt 0x0
	s_barrier_signal -1
	s_barrier_wait -1
	global_inv scope:SCOPE_SE
	v_lshrrev_b16 v45, 12, v0
	s_mov_b32 s4, 0x37e14327
	s_mov_b32 s10, 0xe976ee23
	;; [unrolled: 1-line block ×4, first 2 shown]
	v_mul_lo_u16 v0, v45, 30
	s_mov_b32 s0, 0x429ad128
	s_mov_b32 s1, 0x3febfeb5
	;; [unrolled: 1-line block ×4, first 2 shown]
	v_sub_nc_u16 v0, v44, v0
	s_mov_b32 s14, 0xaaaaaaaa
	s_mov_b32 s20, 0xb247c609
	;; [unrolled: 1-line block ×4, first 2 shown]
	v_and_b32_e32 v67, 0xff, v0
	s_mov_b32 s21, 0x3fd5d0dc
	s_mov_b32 s17, 0x3fe77f67
	;; [unrolled: 1-line block ×4, first 2 shown]
	v_mul_u32_u24_e32 v0, 6, v67
	s_wait_alu 0xfffe
	s_mov_b32 s18, s16
	s_mov_b32 s22, s20
	;; [unrolled: 1-line block ×4, first 2 shown]
	v_lshlrev_b32_e32 v20, 4, v0
	s_clause 0x5
	global_load_b128 v[0:3], v20, s[8:9] offset:448
	global_load_b128 v[4:7], v20, s[8:9] offset:464
	;; [unrolled: 1-line block ×6, first 2 shown]
	ds_load_b128 v[24:27], v46 offset:3360
	ds_load_b128 v[28:31], v46 offset:6720
	;; [unrolled: 1-line block ×6, first 2 shown]
	s_wait_loadcnt_dscnt 0x505
	v_mul_f64_e32 v[55:56], v[26:27], v[2:3]
	v_mul_f64_e32 v[2:3], v[24:25], v[2:3]
	s_wait_loadcnt_dscnt 0x404
	v_mul_f64_e32 v[57:58], v[30:31], v[6:7]
	v_mul_f64_e32 v[6:7], v[28:29], v[6:7]
	;; [unrolled: 3-line block ×6, first 2 shown]
	v_fma_f64 v[24:25], v[24:25], v[0:1], -v[55:56]
	v_fma_f64 v[0:1], v[26:27], v[0:1], v[2:3]
	v_fma_f64 v[2:3], v[28:29], v[4:5], -v[57:58]
	v_fma_f64 v[4:5], v[30:31], v[4:5], v[6:7]
	;; [unrolled: 2-line block ×6, first 2 shown]
	v_add_f64_e32 v[22:23], v[24:25], v[6:7]
	v_add_f64_e32 v[26:27], v[0:1], v[8:9]
	v_add_f64_e32 v[28:29], v[2:3], v[10:11]
	v_add_f64_e32 v[30:31], v[4:5], v[12:13]
	v_add_f64_e64 v[10:11], v[2:3], -v[10:11]
	v_add_f64_e64 v[4:5], v[4:5], -v[12:13]
	v_add_f64_e32 v[2:3], v[14:15], v[18:19]
	v_add_f64_e32 v[12:13], v[16:17], v[20:21]
	v_add_f64_e64 v[14:15], v[18:19], -v[14:15]
	v_add_f64_e64 v[16:17], v[20:21], -v[16:17]
	;; [unrolled: 1-line block ×4, first 2 shown]
	v_add_f64_e32 v[0:1], v[28:29], v[22:23]
	v_add_f64_e32 v[18:19], v[30:31], v[26:27]
	v_add_f64_e64 v[20:21], v[22:23], -v[2:3]
	v_add_f64_e64 v[24:25], v[26:27], -v[12:13]
	;; [unrolled: 1-line block ×7, first 2 shown]
	v_add_f64_e32 v[10:11], v[14:15], v[10:11]
	v_add_f64_e32 v[4:5], v[16:17], v[4:5]
	v_add_f64_e64 v[14:15], v[6:7], -v[14:15]
	v_add_f64_e64 v[16:17], v[8:9], -v[16:17]
	v_add_f64_e64 v[22:23], v[28:29], -v[22:23]
	v_add_f64_e64 v[26:27], v[30:31], -v[26:27]
	v_add_f64_e32 v[47:48], v[2:3], v[0:1]
	v_add_f64_e32 v[18:19], v[12:13], v[18:19]
	v_add_f64_e64 v[12:13], v[12:13], -v[30:31]
	ds_load_b128 v[0:3], v46
	v_mul_f64_e32 v[20:21], s[4:5], v[20:21]
	v_mul_f64_e32 v[24:25], s[4:5], v[24:25]
	;; [unrolled: 1-line block ×7, first 2 shown]
	v_add_f64_e32 v[6:7], v[10:11], v[6:7]
	v_add_f64_e32 v[4:5], v[4:5], v[8:9]
	global_wb scope:SCOPE_SE
	s_wait_dscnt 0x0
	s_barrier_signal -1
	s_barrier_wait -1
	global_inv scope:SCOPE_SE
	v_add_f64_e32 v[0:1], v[0:1], v[47:48]
	v_add_f64_e32 v[2:3], v[2:3], v[18:19]
	v_mul_f64_e32 v[30:31], s[12:13], v[12:13]
	v_fma_f64 v[8:9], v[49:50], s[12:13], v[20:21]
	v_fma_f64 v[10:11], v[12:13], s[12:13], v[24:25]
	;; [unrolled: 1-line block ×4, first 2 shown]
	v_fma_f64 v[32:33], v[36:37], s[0:1], -v[32:33]
	v_fma_f64 v[14:15], v[14:15], s[22:23], -v[51:52]
	;; [unrolled: 1-line block ×7, first 2 shown]
	v_fma_f64 v[36:37], v[47:48], s[14:15], v[0:1]
	v_fma_f64 v[18:19], v[18:19], s[14:15], v[2:3]
	v_fma_f64 v[26:27], v[26:27], s[16:17], -v[30:31]
	s_wait_alu 0xfffe
	v_fma_f64 v[28:29], v[6:7], s[24:25], v[12:13]
	v_fma_f64 v[30:31], v[4:5], s[24:25], v[49:50]
	;; [unrolled: 1-line block ×6, first 2 shown]
	v_add_f64_e32 v[49:50], v[8:9], v[36:37]
	v_add_f64_e32 v[51:52], v[10:11], v[18:19]
	;; [unrolled: 1-line block ×7, first 2 shown]
	v_add_f64_e64 v[6:7], v[51:52], -v[28:29]
	v_add_f64_e32 v[8:9], v[47:48], v[20:21]
	v_add_f64_e64 v[10:11], v[24:25], -v[38:39]
	v_add_f64_e64 v[12:13], v[16:17], -v[34:35]
	v_add_f64_e32 v[14:15], v[32:33], v[18:19]
	v_add_f64_e32 v[16:17], v[34:35], v[16:17]
	v_add_f64_e64 v[18:19], v[18:19], -v[32:33]
	v_add_f64_e64 v[20:21], v[20:21], -v[47:48]
	v_add_f64_e32 v[22:23], v[38:39], v[24:25]
	v_add_f64_e64 v[24:25], v[49:50], -v[30:31]
	v_add_f64_e32 v[26:27], v[28:29], v[51:52]
	v_and_b32_e32 v28, 0xffff, v45
	v_mul_u32_u24_e32 v29, 6, v44
	v_lshlrev_b32_e32 v30, 4, v67
	s_delay_alu instid0(VALU_DEP_3) | instskip(NEXT) | instid1(VALU_DEP_3)
	v_mul_u32_u24_e32 v28, 0xd20, v28
	v_lshlrev_b32_e32 v29, 4, v29
	s_delay_alu instid0(VALU_DEP_2)
	v_add3_u32 v28, 0, v28, v30
	ds_store_b128 v28, v[0:3]
	ds_store_b128 v28, v[4:7] offset:480
	ds_store_b128 v28, v[8:11] offset:960
	;; [unrolled: 1-line block ×6, first 2 shown]
	global_wb scope:SCOPE_SE
	s_wait_dscnt 0x0
	s_barrier_signal -1
	s_barrier_wait -1
	global_inv scope:SCOPE_SE
	s_clause 0x5
	global_load_b128 v[0:3], v29, s[8:9] offset:3328
	global_load_b128 v[4:7], v29, s[8:9] offset:3344
	global_load_b128 v[8:11], v29, s[8:9] offset:3408
	global_load_b128 v[12:15], v29, s[8:9] offset:3392
	global_load_b128 v[16:19], v29, s[8:9] offset:3360
	global_load_b128 v[20:23], v29, s[8:9] offset:3376
	ds_load_b128 v[24:27], v46 offset:3360
	ds_load_b128 v[28:31], v46 offset:6720
	;; [unrolled: 1-line block ×6, first 2 shown]
	s_wait_loadcnt_dscnt 0x505
	v_mul_f64_e32 v[55:56], v[26:27], v[2:3]
	v_mul_f64_e32 v[2:3], v[24:25], v[2:3]
	s_wait_loadcnt_dscnt 0x404
	v_mul_f64_e32 v[57:58], v[30:31], v[6:7]
	v_mul_f64_e32 v[6:7], v[28:29], v[6:7]
	s_wait_loadcnt_dscnt 0x303
	v_mul_f64_e32 v[59:60], v[34:35], v[10:11]
	v_mul_f64_e32 v[10:11], v[32:33], v[10:11]
	s_wait_loadcnt_dscnt 0x202
	v_mul_f64_e32 v[61:62], v[38:39], v[14:15]
	v_mul_f64_e32 v[14:15], v[36:37], v[14:15]
	s_wait_loadcnt_dscnt 0x101
	v_mul_f64_e32 v[63:64], v[49:50], v[18:19]
	v_mul_f64_e32 v[18:19], v[47:48], v[18:19]
	s_wait_loadcnt_dscnt 0x0
	v_mul_f64_e32 v[65:66], v[53:54], v[22:23]
	v_mul_f64_e32 v[22:23], v[51:52], v[22:23]
	v_fma_f64 v[24:25], v[24:25], v[0:1], -v[55:56]
	v_fma_f64 v[0:1], v[26:27], v[0:1], v[2:3]
	v_fma_f64 v[2:3], v[28:29], v[4:5], -v[57:58]
	v_fma_f64 v[4:5], v[30:31], v[4:5], v[6:7]
	;; [unrolled: 2-line block ×6, first 2 shown]
	v_add_f64_e32 v[22:23], v[24:25], v[6:7]
	v_add_f64_e32 v[26:27], v[0:1], v[8:9]
	;; [unrolled: 1-line block ×4, first 2 shown]
	v_add_f64_e64 v[10:11], v[2:3], -v[10:11]
	v_add_f64_e64 v[4:5], v[4:5], -v[12:13]
	v_add_f64_e32 v[2:3], v[14:15], v[18:19]
	v_add_f64_e32 v[12:13], v[16:17], v[20:21]
	v_add_f64_e64 v[14:15], v[18:19], -v[14:15]
	v_add_f64_e64 v[16:17], v[20:21], -v[16:17]
	v_add_f64_e64 v[8:9], v[0:1], -v[8:9]
	v_add_f64_e64 v[6:7], v[24:25], -v[6:7]
	v_add_f64_e32 v[0:1], v[28:29], v[22:23]
	v_add_f64_e32 v[18:19], v[30:31], v[26:27]
	v_add_f64_e64 v[20:21], v[22:23], -v[2:3]
	v_add_f64_e64 v[24:25], v[26:27], -v[12:13]
	;; [unrolled: 1-line block ×7, first 2 shown]
	v_add_f64_e32 v[10:11], v[14:15], v[10:11]
	v_add_f64_e32 v[4:5], v[16:17], v[4:5]
	v_add_f64_e64 v[14:15], v[6:7], -v[14:15]
	v_add_f64_e64 v[16:17], v[8:9], -v[16:17]
	;; [unrolled: 1-line block ×4, first 2 shown]
	v_add_f64_e32 v[47:48], v[2:3], v[0:1]
	v_add_f64_e32 v[18:19], v[12:13], v[18:19]
	v_add_f64_e64 v[12:13], v[12:13], -v[30:31]
	ds_load_b128 v[0:3], v46
	v_mul_f64_e32 v[20:21], s[4:5], v[20:21]
	v_mul_f64_e32 v[24:25], s[4:5], v[24:25]
	v_mul_f64_e32 v[32:33], s[10:11], v[32:33]
	v_mul_f64_e32 v[34:35], s[10:11], v[34:35]
	v_mul_f64_e32 v[53:54], s[0:1], v[38:39]
	v_mul_f64_e32 v[51:52], s[0:1], v[36:37]
	v_mul_f64_e32 v[28:29], s[12:13], v[49:50]
	v_add_f64_e32 v[6:7], v[10:11], v[6:7]
	v_add_f64_e32 v[4:5], v[4:5], v[8:9]
	global_wb scope:SCOPE_SE
	s_wait_dscnt 0x0
	s_barrier_signal -1
	s_barrier_wait -1
	global_inv scope:SCOPE_SE
	v_add_f64_e32 v[0:1], v[0:1], v[47:48]
	v_add_f64_e32 v[2:3], v[2:3], v[18:19]
	v_mul_f64_e32 v[30:31], s[12:13], v[12:13]
	v_fma_f64 v[8:9], v[49:50], s[12:13], v[20:21]
	v_fma_f64 v[10:11], v[12:13], s[12:13], v[24:25]
	;; [unrolled: 1-line block ×4, first 2 shown]
	v_fma_f64 v[32:33], v[36:37], s[0:1], -v[32:33]
	v_fma_f64 v[14:15], v[14:15], s[22:23], -v[51:52]
	;; [unrolled: 1-line block ×7, first 2 shown]
	v_fma_f64 v[36:37], v[47:48], s[14:15], v[0:1]
	v_fma_f64 v[18:19], v[18:19], s[14:15], v[2:3]
	v_fma_f64 v[26:27], v[26:27], s[16:17], -v[30:31]
	v_fma_f64 v[28:29], v[6:7], s[24:25], v[12:13]
	v_fma_f64 v[30:31], v[4:5], s[24:25], v[49:50]
	;; [unrolled: 1-line block ×6, first 2 shown]
	v_add_f64_e32 v[49:50], v[8:9], v[36:37]
	v_add_f64_e32 v[51:52], v[10:11], v[18:19]
	;; [unrolled: 1-line block ×7, first 2 shown]
	v_add_f64_e64 v[6:7], v[51:52], -v[28:29]
	v_add_f64_e32 v[8:9], v[47:48], v[20:21]
	v_add_f64_e64 v[10:11], v[24:25], -v[38:39]
	v_add_f64_e64 v[12:13], v[16:17], -v[34:35]
	v_add_f64_e32 v[14:15], v[32:33], v[18:19]
	v_add_f64_e32 v[16:17], v[34:35], v[16:17]
	v_add_f64_e64 v[18:19], v[18:19], -v[32:33]
	v_add_f64_e64 v[20:21], v[20:21], -v[47:48]
	v_add_f64_e32 v[22:23], v[38:39], v[24:25]
	v_add_f64_e64 v[24:25], v[49:50], -v[30:31]
	v_add_f64_e32 v[26:27], v[28:29], v[51:52]
	ds_store_b128 v46, v[0:3]
	ds_store_b128 v46, v[4:7] offset:3360
	ds_store_b128 v46, v[8:11] offset:6720
	;; [unrolled: 1-line block ×6, first 2 shown]
	global_wb scope:SCOPE_SE
	s_wait_dscnt 0x0
	s_barrier_signal -1
	s_barrier_wait -1
	global_inv scope:SCOPE_SE
	s_and_saveexec_b32 s0, vcc_lo
	s_cbranch_execz .LBB0_33
; %bb.32:
	v_mul_lo_u32 v2, s3, v42
	v_mul_lo_u32 v3, s2, v43
	v_mad_co_u64_u32 v[0:1], null, s2, v42, 0
	v_lshl_add_u32 v17, v44, 4, 0
	v_dual_mov_b32 v45, 0 :: v_dual_add_nc_u32 v10, 0xd2, v44
	v_lshlrev_b64_e32 v[8:9], 4, v[40:41]
	v_add_nc_u32_e32 v12, 0x1a4, v44
	s_delay_alu instid0(VALU_DEP_3) | instskip(SKIP_3) | instid1(VALU_DEP_3)
	v_dual_mov_b32 v11, v45 :: v_dual_add_nc_u32 v24, 0x41a, v44
	v_add3_u32 v1, v1, v3, v2
	v_lshlrev_b64_e32 v[15:16], 4, v[44:45]
	v_mov_b32_e32 v25, v45
	v_lshlrev_b64_e32 v[13:14], 4, v[0:1]
	ds_load_b128 v[0:3], v17
	ds_load_b128 v[4:7], v17 offset:3360
	v_add_co_u32 v18, vcc_lo, s6, v13
	s_wait_alu 0xfffd
	v_add_co_ci_u32_e32 v14, vcc_lo, s7, v14, vcc_lo
	v_mov_b32_e32 v13, v45
	s_delay_alu instid0(VALU_DEP_3) | instskip(SKIP_1) | instid1(VALU_DEP_3)
	v_add_co_u32 v30, vcc_lo, v18, v8
	s_wait_alu 0xfffd
	v_add_co_ci_u32_e32 v31, vcc_lo, v14, v9, vcc_lo
	v_lshlrev_b64_e32 v[8:9], 4, v[10:11]
	s_delay_alu instid0(VALU_DEP_3) | instskip(SKIP_1) | instid1(VALU_DEP_3)
	v_add_co_u32 v10, vcc_lo, v30, v15
	s_wait_alu 0xfffd
	v_add_co_ci_u32_e32 v11, vcc_lo, v31, v16, vcc_lo
	s_delay_alu instid0(VALU_DEP_3)
	v_add_co_u32 v8, vcc_lo, v30, v8
	s_wait_alu 0xfffd
	v_add_co_ci_u32_e32 v9, vcc_lo, v31, v9, vcc_lo
	s_wait_dscnt 0x1
	global_store_b128 v[10:11], v[0:3], off
	s_wait_dscnt 0x0
	global_store_b128 v[8:9], v[4:7], off
	v_dual_mov_b32 v1, v45 :: v_dual_add_nc_u32 v0, 0x276, v44
	v_add_nc_u32_e32 v10, 0x348, v44
	v_lshlrev_b64_e32 v[12:13], 4, v[12:13]
	v_dual_mov_b32 v11, v45 :: v_dual_add_nc_u32 v44, 0x4ec, v44
	s_delay_alu instid0(VALU_DEP_4)
	v_lshlrev_b64_e32 v[8:9], 4, v[0:1]
	ds_load_b128 v[0:3], v17 offset:6720
	ds_load_b128 v[4:7], v17 offset:10080
	v_lshlrev_b64_e32 v[24:25], 4, v[24:25]
	v_add_co_u32 v20, vcc_lo, v30, v12
	s_wait_alu 0xfffd
	v_add_co_ci_u32_e32 v21, vcc_lo, v31, v13, vcc_lo
	v_add_co_u32 v22, vcc_lo, v30, v8
	s_wait_alu 0xfffd
	v_add_co_ci_u32_e32 v23, vcc_lo, v31, v9, vcc_lo
	v_lshlrev_b64_e32 v[26:27], 4, v[10:11]
	ds_load_b128 v[8:11], v17 offset:13440
	ds_load_b128 v[12:15], v17 offset:16800
	;; [unrolled: 1-line block ×3, first 2 shown]
	v_lshlrev_b64_e32 v[28:29], 4, v[44:45]
	v_add_co_u32 v26, vcc_lo, v30, v26
	s_wait_alu 0xfffd
	v_add_co_ci_u32_e32 v27, vcc_lo, v31, v27, vcc_lo
	v_add_co_u32 v24, vcc_lo, v30, v24
	s_wait_alu 0xfffd
	v_add_co_ci_u32_e32 v25, vcc_lo, v31, v25, vcc_lo
	;; [unrolled: 3-line block ×3, first 2 shown]
	s_wait_dscnt 0x4
	global_store_b128 v[20:21], v[0:3], off
	s_wait_dscnt 0x3
	global_store_b128 v[22:23], v[4:7], off
	;; [unrolled: 2-line block ×5, first 2 shown]
.LBB0_33:
	s_nop 0
	s_sendmsg sendmsg(MSG_DEALLOC_VGPRS)
	s_endpgm
	.section	.rodata,"a",@progbits
	.p2align	6, 0x0
	.amdhsa_kernel fft_rtc_fwd_len1470_factors_2_3_5_7_7_wgs_210_tpt_210_halfLds_dp_op_CI_CI_unitstride_sbrr_C2R_dirReg
		.amdhsa_group_segment_fixed_size 0
		.amdhsa_private_segment_fixed_size 0
		.amdhsa_kernarg_size 104
		.amdhsa_user_sgpr_count 2
		.amdhsa_user_sgpr_dispatch_ptr 0
		.amdhsa_user_sgpr_queue_ptr 0
		.amdhsa_user_sgpr_kernarg_segment_ptr 1
		.amdhsa_user_sgpr_dispatch_id 0
		.amdhsa_user_sgpr_private_segment_size 0
		.amdhsa_wavefront_size32 1
		.amdhsa_uses_dynamic_stack 0
		.amdhsa_enable_private_segment 0
		.amdhsa_system_sgpr_workgroup_id_x 1
		.amdhsa_system_sgpr_workgroup_id_y 0
		.amdhsa_system_sgpr_workgroup_id_z 0
		.amdhsa_system_sgpr_workgroup_info 0
		.amdhsa_system_vgpr_workitem_id 0
		.amdhsa_next_free_vgpr 82
		.amdhsa_next_free_sgpr 39
		.amdhsa_reserve_vcc 1
		.amdhsa_float_round_mode_32 0
		.amdhsa_float_round_mode_16_64 0
		.amdhsa_float_denorm_mode_32 3
		.amdhsa_float_denorm_mode_16_64 3
		.amdhsa_fp16_overflow 0
		.amdhsa_workgroup_processor_mode 1
		.amdhsa_memory_ordered 1
		.amdhsa_forward_progress 0
		.amdhsa_round_robin_scheduling 0
		.amdhsa_exception_fp_ieee_invalid_op 0
		.amdhsa_exception_fp_denorm_src 0
		.amdhsa_exception_fp_ieee_div_zero 0
		.amdhsa_exception_fp_ieee_overflow 0
		.amdhsa_exception_fp_ieee_underflow 0
		.amdhsa_exception_fp_ieee_inexact 0
		.amdhsa_exception_int_div_zero 0
	.end_amdhsa_kernel
	.text
.Lfunc_end0:
	.size	fft_rtc_fwd_len1470_factors_2_3_5_7_7_wgs_210_tpt_210_halfLds_dp_op_CI_CI_unitstride_sbrr_C2R_dirReg, .Lfunc_end0-fft_rtc_fwd_len1470_factors_2_3_5_7_7_wgs_210_tpt_210_halfLds_dp_op_CI_CI_unitstride_sbrr_C2R_dirReg
                                        ; -- End function
	.section	.AMDGPU.csdata,"",@progbits
; Kernel info:
; codeLenInByte = 8144
; NumSgprs: 41
; NumVgprs: 82
; ScratchSize: 0
; MemoryBound: 0
; FloatMode: 240
; IeeeMode: 1
; LDSByteSize: 0 bytes/workgroup (compile time only)
; SGPRBlocks: 5
; VGPRBlocks: 10
; NumSGPRsForWavesPerEU: 41
; NumVGPRsForWavesPerEU: 82
; Occupancy: 16
; WaveLimiterHint : 1
; COMPUTE_PGM_RSRC2:SCRATCH_EN: 0
; COMPUTE_PGM_RSRC2:USER_SGPR: 2
; COMPUTE_PGM_RSRC2:TRAP_HANDLER: 0
; COMPUTE_PGM_RSRC2:TGID_X_EN: 1
; COMPUTE_PGM_RSRC2:TGID_Y_EN: 0
; COMPUTE_PGM_RSRC2:TGID_Z_EN: 0
; COMPUTE_PGM_RSRC2:TIDIG_COMP_CNT: 0
	.text
	.p2alignl 7, 3214868480
	.fill 96, 4, 3214868480
	.type	__hip_cuid_c8f4baaa7426d6df,@object ; @__hip_cuid_c8f4baaa7426d6df
	.section	.bss,"aw",@nobits
	.globl	__hip_cuid_c8f4baaa7426d6df
__hip_cuid_c8f4baaa7426d6df:
	.byte	0                               ; 0x0
	.size	__hip_cuid_c8f4baaa7426d6df, 1

	.ident	"AMD clang version 19.0.0git (https://github.com/RadeonOpenCompute/llvm-project roc-6.4.0 25133 c7fe45cf4b819c5991fe208aaa96edf142730f1d)"
	.section	".note.GNU-stack","",@progbits
	.addrsig
	.addrsig_sym __hip_cuid_c8f4baaa7426d6df
	.amdgpu_metadata
---
amdhsa.kernels:
  - .args:
      - .actual_access:  read_only
        .address_space:  global
        .offset:         0
        .size:           8
        .value_kind:     global_buffer
      - .offset:         8
        .size:           8
        .value_kind:     by_value
      - .actual_access:  read_only
        .address_space:  global
        .offset:         16
        .size:           8
        .value_kind:     global_buffer
      - .actual_access:  read_only
        .address_space:  global
        .offset:         24
        .size:           8
        .value_kind:     global_buffer
      - .actual_access:  read_only
        .address_space:  global
        .offset:         32
        .size:           8
        .value_kind:     global_buffer
      - .offset:         40
        .size:           8
        .value_kind:     by_value
      - .actual_access:  read_only
        .address_space:  global
        .offset:         48
        .size:           8
        .value_kind:     global_buffer
      - .actual_access:  read_only
        .address_space:  global
        .offset:         56
        .size:           8
        .value_kind:     global_buffer
      - .offset:         64
        .size:           4
        .value_kind:     by_value
      - .actual_access:  read_only
        .address_space:  global
        .offset:         72
        .size:           8
        .value_kind:     global_buffer
      - .actual_access:  read_only
        .address_space:  global
        .offset:         80
        .size:           8
        .value_kind:     global_buffer
      - .actual_access:  read_only
        .address_space:  global
        .offset:         88
        .size:           8
        .value_kind:     global_buffer
      - .actual_access:  write_only
        .address_space:  global
        .offset:         96
        .size:           8
        .value_kind:     global_buffer
    .group_segment_fixed_size: 0
    .kernarg_segment_align: 8
    .kernarg_segment_size: 104
    .language:       OpenCL C
    .language_version:
      - 2
      - 0
    .max_flat_workgroup_size: 210
    .name:           fft_rtc_fwd_len1470_factors_2_3_5_7_7_wgs_210_tpt_210_halfLds_dp_op_CI_CI_unitstride_sbrr_C2R_dirReg
    .private_segment_fixed_size: 0
    .sgpr_count:     41
    .sgpr_spill_count: 0
    .symbol:         fft_rtc_fwd_len1470_factors_2_3_5_7_7_wgs_210_tpt_210_halfLds_dp_op_CI_CI_unitstride_sbrr_C2R_dirReg.kd
    .uniform_work_group_size: 1
    .uses_dynamic_stack: false
    .vgpr_count:     82
    .vgpr_spill_count: 0
    .wavefront_size: 32
    .workgroup_processor_mode: 1
amdhsa.target:   amdgcn-amd-amdhsa--gfx1201
amdhsa.version:
  - 1
  - 2
...

	.end_amdgpu_metadata
